;; amdgpu-corpus repo=ROCm/rocFFT kind=compiled arch=gfx950 opt=O3
	.text
	.amdgcn_target "amdgcn-amd-amdhsa--gfx950"
	.amdhsa_code_object_version 6
	.protected	fft_rtc_back_len686_factors_7_7_7_2_wgs_49_tpt_49_sp_ip_CI_unitstride_sbrr_C2R_dirReg ; -- Begin function fft_rtc_back_len686_factors_7_7_7_2_wgs_49_tpt_49_sp_ip_CI_unitstride_sbrr_C2R_dirReg
	.globl	fft_rtc_back_len686_factors_7_7_7_2_wgs_49_tpt_49_sp_ip_CI_unitstride_sbrr_C2R_dirReg
	.p2align	8
	.type	fft_rtc_back_len686_factors_7_7_7_2_wgs_49_tpt_49_sp_ip_CI_unitstride_sbrr_C2R_dirReg,@function
fft_rtc_back_len686_factors_7_7_7_2_wgs_49_tpt_49_sp_ip_CI_unitstride_sbrr_C2R_dirReg: ; @fft_rtc_back_len686_factors_7_7_7_2_wgs_49_tpt_49_sp_ip_CI_unitstride_sbrr_C2R_dirReg
; %bb.0:
	s_load_dwordx2 s[8:9], s[0:1], 0x50
	s_load_dwordx4 s[4:7], s[0:1], 0x0
	s_load_dwordx2 s[10:11], s[0:1], 0x18
	v_mul_u32_u24_e32 v1, 0x53a, v0
	v_add_u32_sdwa v6, s2, v1 dst_sel:DWORD dst_unused:UNUSED_PAD src0_sel:DWORD src1_sel:WORD_1
	v_mov_b32_e32 v4, 0
	s_waitcnt lgkmcnt(0)
	v_cmp_lt_u64_e64 s[2:3], s[6:7], 2
	v_mov_b32_e32 v7, v4
	s_and_b64 vcc, exec, s[2:3]
	v_mov_b64_e32 v[2:3], 0
	s_cbranch_vccnz .LBB0_8
; %bb.1:
	s_load_dwordx2 s[2:3], s[0:1], 0x10
	s_add_u32 s12, s10, 8
	s_addc_u32 s13, s11, 0
	s_mov_b64 s[14:15], 1
	v_mov_b64_e32 v[2:3], 0
	s_waitcnt lgkmcnt(0)
	s_add_u32 s16, s2, 8
	s_addc_u32 s17, s3, 0
.LBB0_2:                                ; =>This Inner Loop Header: Depth=1
	s_load_dwordx2 s[18:19], s[16:17], 0x0
                                        ; implicit-def: $vgpr8_vgpr9
	s_waitcnt lgkmcnt(0)
	v_or_b32_e32 v5, s19, v7
	v_cmp_ne_u64_e32 vcc, 0, v[4:5]
	s_and_saveexec_b64 s[2:3], vcc
	s_xor_b64 s[20:21], exec, s[2:3]
	s_cbranch_execz .LBB0_4
; %bb.3:                                ;   in Loop: Header=BB0_2 Depth=1
	v_cvt_f32_u32_e32 v1, s18
	v_cvt_f32_u32_e32 v5, s19
	s_sub_u32 s2, 0, s18
	s_subb_u32 s3, 0, s19
	v_fmac_f32_e32 v1, 0x4f800000, v5
	v_rcp_f32_e32 v1, v1
	s_nop 0
	v_mul_f32_e32 v1, 0x5f7ffffc, v1
	v_mul_f32_e32 v5, 0x2f800000, v1
	v_trunc_f32_e32 v5, v5
	v_fmac_f32_e32 v1, 0xcf800000, v5
	v_cvt_u32_f32_e32 v5, v5
	v_cvt_u32_f32_e32 v1, v1
	v_mul_lo_u32 v8, s2, v5
	v_mul_hi_u32 v10, s2, v1
	v_mul_lo_u32 v9, s3, v1
	v_add_u32_e32 v10, v10, v8
	v_mul_lo_u32 v12, s2, v1
	v_add_u32_e32 v13, v10, v9
	v_mul_hi_u32 v8, v1, v12
	v_mul_hi_u32 v11, v1, v13
	v_mul_lo_u32 v10, v1, v13
	v_mov_b32_e32 v9, v4
	v_lshl_add_u64 v[8:9], v[8:9], 0, v[10:11]
	v_mul_hi_u32 v11, v5, v12
	v_mul_lo_u32 v12, v5, v12
	v_add_co_u32_e32 v8, vcc, v8, v12
	v_mul_hi_u32 v10, v5, v13
	s_nop 0
	v_addc_co_u32_e32 v8, vcc, v9, v11, vcc
	v_mov_b32_e32 v9, v4
	s_nop 0
	v_addc_co_u32_e32 v11, vcc, 0, v10, vcc
	v_mul_lo_u32 v10, v5, v13
	v_lshl_add_u64 v[8:9], v[8:9], 0, v[10:11]
	v_add_co_u32_e32 v1, vcc, v1, v8
	v_mul_lo_u32 v10, s2, v1
	s_nop 0
	v_addc_co_u32_e32 v5, vcc, v5, v9, vcc
	v_mul_lo_u32 v8, s2, v5
	v_mul_hi_u32 v9, s2, v1
	v_add_u32_e32 v8, v9, v8
	v_mul_lo_u32 v9, s3, v1
	v_add_u32_e32 v12, v8, v9
	v_mul_hi_u32 v14, v5, v10
	v_mul_lo_u32 v15, v5, v10
	v_mul_hi_u32 v9, v1, v12
	v_mul_lo_u32 v8, v1, v12
	v_mul_hi_u32 v10, v1, v10
	v_mov_b32_e32 v11, v4
	v_lshl_add_u64 v[8:9], v[10:11], 0, v[8:9]
	v_add_co_u32_e32 v8, vcc, v8, v15
	v_mul_hi_u32 v13, v5, v12
	s_nop 0
	v_addc_co_u32_e32 v8, vcc, v9, v14, vcc
	v_mul_lo_u32 v10, v5, v12
	s_nop 0
	v_addc_co_u32_e32 v11, vcc, 0, v13, vcc
	v_mov_b32_e32 v9, v4
	v_lshl_add_u64 v[8:9], v[8:9], 0, v[10:11]
	v_add_co_u32_e32 v1, vcc, v1, v8
	v_mul_hi_u32 v10, v6, v1
	s_nop 0
	v_addc_co_u32_e32 v5, vcc, v5, v9, vcc
	v_mad_u64_u32 v[8:9], s[2:3], v6, v5, 0
	v_mov_b32_e32 v11, v4
	v_lshl_add_u64 v[8:9], v[10:11], 0, v[8:9]
	v_mad_u64_u32 v[12:13], s[2:3], v7, v1, 0
	v_add_co_u32_e32 v1, vcc, v8, v12
	v_mad_u64_u32 v[10:11], s[2:3], v7, v5, 0
	s_nop 0
	v_addc_co_u32_e32 v8, vcc, v9, v13, vcc
	v_mov_b32_e32 v9, v4
	s_nop 0
	v_addc_co_u32_e32 v11, vcc, 0, v11, vcc
	v_lshl_add_u64 v[8:9], v[8:9], 0, v[10:11]
	v_mul_lo_u32 v1, s19, v8
	v_mul_lo_u32 v5, s18, v9
	v_mad_u64_u32 v[10:11], s[2:3], s18, v8, 0
	v_add3_u32 v1, v11, v5, v1
	v_sub_u32_e32 v5, v7, v1
	v_mov_b32_e32 v11, s19
	v_sub_co_u32_e32 v14, vcc, v6, v10
	v_lshl_add_u64 v[12:13], v[8:9], 0, 1
	s_nop 0
	v_subb_co_u32_e64 v5, s[2:3], v5, v11, vcc
	v_subrev_co_u32_e64 v10, s[2:3], s18, v14
	v_subb_co_u32_e32 v1, vcc, v7, v1, vcc
	s_nop 0
	v_subbrev_co_u32_e64 v5, s[2:3], 0, v5, s[2:3]
	v_cmp_le_u32_e64 s[2:3], s19, v5
	v_cmp_le_u32_e32 vcc, s19, v1
	s_nop 0
	v_cndmask_b32_e64 v11, 0, -1, s[2:3]
	v_cmp_le_u32_e64 s[2:3], s18, v10
	s_nop 1
	v_cndmask_b32_e64 v10, 0, -1, s[2:3]
	v_cmp_eq_u32_e64 s[2:3], s19, v5
	s_nop 1
	v_cndmask_b32_e64 v5, v11, v10, s[2:3]
	v_lshl_add_u64 v[10:11], v[8:9], 0, 2
	v_cmp_ne_u32_e64 s[2:3], 0, v5
	s_nop 1
	v_cndmask_b32_e64 v5, v13, v11, s[2:3]
	v_cndmask_b32_e64 v11, 0, -1, vcc
	v_cmp_le_u32_e32 vcc, s18, v14
	s_nop 1
	v_cndmask_b32_e64 v13, 0, -1, vcc
	v_cmp_eq_u32_e32 vcc, s19, v1
	s_nop 1
	v_cndmask_b32_e32 v1, v11, v13, vcc
	v_cmp_ne_u32_e32 vcc, 0, v1
	v_cndmask_b32_e64 v1, v12, v10, s[2:3]
	s_nop 0
	v_cndmask_b32_e32 v9, v9, v5, vcc
	v_cndmask_b32_e32 v8, v8, v1, vcc
.LBB0_4:                                ;   in Loop: Header=BB0_2 Depth=1
	s_andn2_saveexec_b64 s[2:3], s[20:21]
	s_cbranch_execz .LBB0_6
; %bb.5:                                ;   in Loop: Header=BB0_2 Depth=1
	v_cvt_f32_u32_e32 v1, s18
	s_sub_i32 s20, 0, s18
	v_rcp_iflag_f32_e32 v1, v1
	s_nop 0
	v_mul_f32_e32 v1, 0x4f7ffffe, v1
	v_cvt_u32_f32_e32 v1, v1
	v_mul_lo_u32 v5, s20, v1
	v_mul_hi_u32 v5, v1, v5
	v_add_u32_e32 v1, v1, v5
	v_mul_hi_u32 v1, v6, v1
	v_mul_lo_u32 v5, v1, s18
	v_sub_u32_e32 v5, v6, v5
	v_add_u32_e32 v8, 1, v1
	v_subrev_u32_e32 v9, s18, v5
	v_cmp_le_u32_e32 vcc, s18, v5
	s_nop 1
	v_cndmask_b32_e32 v5, v5, v9, vcc
	v_cndmask_b32_e32 v1, v1, v8, vcc
	v_add_u32_e32 v8, 1, v1
	v_cmp_le_u32_e32 vcc, s18, v5
	v_mov_b32_e32 v9, v4
	s_nop 0
	v_cndmask_b32_e32 v8, v1, v8, vcc
.LBB0_6:                                ;   in Loop: Header=BB0_2 Depth=1
	s_or_b64 exec, exec, s[2:3]
	v_mad_u64_u32 v[10:11], s[2:3], v8, s18, 0
	s_load_dwordx2 s[2:3], s[12:13], 0x0
	v_mul_lo_u32 v1, v9, s18
	v_mul_lo_u32 v5, v8, s19
	v_add3_u32 v1, v11, v5, v1
	v_sub_co_u32_e32 v5, vcc, v6, v10
	s_add_u32 s14, s14, 1
	s_nop 0
	v_subb_co_u32_e32 v1, vcc, v7, v1, vcc
	s_addc_u32 s15, s15, 0
	s_waitcnt lgkmcnt(0)
	v_mul_lo_u32 v1, s2, v1
	v_mul_lo_u32 v6, s3, v5
	v_mad_u64_u32 v[2:3], s[2:3], s2, v5, v[2:3]
	s_add_u32 s12, s12, 8
	v_add3_u32 v3, v6, v3, v1
	s_addc_u32 s13, s13, 0
	v_mov_b64_e32 v[6:7], s[6:7]
	s_add_u32 s16, s16, 8
	v_cmp_ge_u64_e32 vcc, s[14:15], v[6:7]
	s_addc_u32 s17, s17, 0
	s_cbranch_vccnz .LBB0_9
; %bb.7:                                ;   in Loop: Header=BB0_2 Depth=1
	v_mov_b64_e32 v[6:7], v[8:9]
	s_branch .LBB0_2
.LBB0_8:
	v_mov_b64_e32 v[8:9], v[6:7]
.LBB0_9:
	s_lshl_b64 s[2:3], s[6:7], 3
	s_add_u32 s2, s10, s2
	s_addc_u32 s3, s11, s3
	s_load_dwordx2 s[6:7], s[2:3], 0x0
	s_load_dwordx2 s[10:11], s[0:1], 0x20
	s_mov_b32 s2, 0x539782a
	v_mov_b32_e32 v5, 0
	s_waitcnt lgkmcnt(0)
	v_mul_lo_u32 v1, s6, v9
	v_mul_lo_u32 v4, s7, v8
	v_mad_u64_u32 v[2:3], s[0:1], s6, v8, v[2:3]
	v_add3_u32 v3, v4, v3, v1
	v_mul_hi_u32 v1, v0, s2
	v_mul_u32_u24_e32 v1, 49, v1
	v_sub_u32_e32 v4, v0, v1
	v_cmp_gt_u64_e64 s[0:1], s[10:11], v[8:9]
	v_lshl_add_u64 v[0:1], v[2:3], 3, s[8:9]
	v_mov_b32_e32 v2, v4
	s_and_saveexec_b64 s[2:3], s[0:1]
	s_cbranch_execz .LBB0_13
; %bb.10:
	v_lshl_add_u64 v[2:3], v[4:5], 3, v[0:1]
	v_add_co_u32_e32 v22, vcc, 0x1000, v2
	global_load_dwordx2 v[6:7], v[2:3], off
	global_load_dwordx2 v[8:9], v[2:3], off offset:392
	global_load_dwordx2 v[10:11], v[2:3], off offset:784
	;; [unrolled: 1-line block ×7, first 2 shown]
	v_addc_co_u32_e32 v23, vcc, 0, v3, vcc
	global_load_dwordx2 v[24:25], v[2:3], off offset:3136
	global_load_dwordx2 v[26:27], v[2:3], off offset:3528
	;; [unrolled: 1-line block ×6, first 2 shown]
	v_lshl_add_u32 v2, v4, 3, 0
	v_cmp_eq_u32_e32 vcc, 48, v4
	v_add_u32_e32 v3, 0x800, v2
	v_add_u32_e32 v22, 0xc00, v2
	;; [unrolled: 1-line block ×3, first 2 shown]
	s_waitcnt vmcnt(12)
	ds_write2_b64 v2, v[6:7], v[8:9] offset1:49
	s_waitcnt vmcnt(10)
	ds_write2_b64 v2, v[10:11], v[12:13] offset0:98 offset1:147
	s_waitcnt vmcnt(8)
	ds_write2_b64 v2, v[14:15], v[16:17] offset0:196 offset1:245
	;; [unrolled: 2-line block ×6, first 2 shown]
	v_mov_b64_e32 v[6:7], v[4:5]
	s_and_saveexec_b64 s[6:7], vcc
	s_cbranch_execz .LBB0_12
; %bb.11:
	v_add_co_u32_e32 v2, vcc, 0x1000, v0
	v_mov_b32_e32 v5, 0
	s_nop 0
	v_addc_co_u32_e32 v3, vcc, 0, v1, vcc
	global_load_dwordx2 v[2:3], v[2:3], off offset:1392
	v_mov_b32_e32 v4, 48
	v_mov_b64_e32 v[6:7], 48
	s_waitcnt vmcnt(0)
	ds_write_b64 v5, v[2:3] offset:5488
.LBB0_12:
	s_or_b64 exec, exec, s[6:7]
	v_mov_b32_e32 v2, v4
	v_mov_b64_e32 v[4:5], v[6:7]
.LBB0_13:
	s_or_b64 exec, exec, s[2:3]
	v_lshlrev_b32_e32 v3, 3, v2
	v_add_u32_e32 v10, 0, v3
	s_waitcnt lgkmcnt(0)
	; wave barrier
	s_waitcnt lgkmcnt(0)
	v_sub_u32_e32 v12, 0, v3
	ds_read_b32 v3, v10
	ds_read_b32 v6, v12 offset:5488
	s_add_u32 s2, s4, 0x1538
	s_addc_u32 s3, s5, 0
	v_cmp_ne_u32_e32 vcc, 0, v2
	s_waitcnt lgkmcnt(0)
	v_add_f32_e32 v8, v6, v3
	v_sub_f32_e32 v9, v3, v6
	s_and_saveexec_b64 s[6:7], vcc
	s_xor_b64 s[6:7], exec, s[6:7]
	s_cbranch_execz .LBB0_15
; %bb.14:
	v_lshl_add_u64 v[6:7], v[4:5], 3, s[2:3]
	global_load_dwordx2 v[6:7], v[6:7], off
	ds_read_b32 v3, v12 offset:5492
	ds_read_b32 v11, v10 offset:4
	v_mov_b32_e32 v14, v9
	v_mov_b32_e32 v16, v8
	v_mov_b32_e32 v19, v9
	s_waitcnt lgkmcnt(0)
	v_add_f32_e32 v15, v3, v11
	v_sub_f32_e32 v17, v11, v3
	v_mov_b32_e32 v18, v15
	s_waitcnt vmcnt(0)
	v_pk_mul_f32 v[20:21], v[14:15], v[6:7] op_sel:[0,1]
	v_pk_fma_f32 v[14:15], v[14:15], v[6:7], v[16:17] op_sel:[0,1,0]
	v_mov_b32_e32 v9, v21
	v_mov_b32_e32 v21, v17
	v_pk_fma_f32 v[22:23], v[6:7], v[18:19], v[14:15] neg_lo:[1,0,0] neg_hi:[1,0,0]
	v_pk_fma_f32 v[14:15], v[6:7], v[18:19], v[14:15] op_sel_hi:[0,1,1]
	v_pk_add_f32 v[8:9], v[8:9], v[20:21] neg_lo:[0,1] neg_hi:[0,1]
	v_mov_b32_e32 v23, v15
	v_pk_fma_f32 v[6:7], v[6:7], v[18:19], v[8:9] op_sel_hi:[0,1,1]
	ds_write_b64 v12, v[6:7] offset:5488
	v_mov_b64_e32 v[8:9], v[22:23]
.LBB0_15:
	s_andn2_saveexec_b64 s[6:7], s[6:7]
	s_cbranch_execz .LBB0_17
; %bb.16:
	v_mov_b32_e32 v3, 0
	ds_read_b64 v[6:7], v3 offset:2744
	s_mov_b32 s8, 2.0
	s_mov_b32 s9, -2.0
	s_waitcnt lgkmcnt(0)
	v_pk_mul_f32 v[6:7], v[6:7], s[8:9]
	ds_write_b64 v3, v[6:7] offset:2744
.LBB0_17:
	s_or_b64 exec, exec, s[6:7]
	v_mov_b32_e32 v3, 0
	v_lshlrev_b64 v[6:7], 3, v[2:3]
	v_lshl_add_u64 v[14:15], s[2:3], 0, v[6:7]
	global_load_dwordx2 v[16:17], v[14:15], off offset:392
	global_load_dwordx2 v[18:19], v[14:15], off offset:784
	;; [unrolled: 1-line block ×3, first 2 shown]
	ds_write_b64 v10, v[8:9]
	ds_read_b64 v[8:9], v12 offset:5096
	ds_read_b64 v[22:23], v10 offset:392
	global_load_dwordx2 v[24:25], v[14:15], off offset:1568
	v_add_u32_e32 v11, 0x1000, v10
	s_mov_b32 s6, 0xbeae86e6
	s_mov_b32 s7, 0x3f08b237
	s_waitcnt lgkmcnt(0)
	v_pk_add_f32 v[26:27], v[22:23], v[8:9] neg_lo:[0,1] neg_hi:[0,1]
	v_pk_add_f32 v[8:9], v[22:23], v[8:9]
	v_mov_b32_e32 v22, v26
	v_mov_b32_e32 v23, v9
	;; [unrolled: 1-line block ×6, first 2 shown]
	s_mov_b32 s18, s7
	s_mov_b32 s19, s6
	;; [unrolled: 1-line block ×10, first 2 shown]
	v_lshl_add_u64 v[4:5], v[4:5], 3, s[4:5]
	s_waitcnt vmcnt(3)
	v_pk_mul_f32 v[32:33], v[22:23], v[16:17] op_sel:[0,1]
	v_pk_fma_f32 v[22:23], v[22:23], v[16:17], v[28:29] op_sel:[0,1,0]
	v_mov_b32_e32 v9, v33
	v_mov_b32_e32 v33, v27
	v_pk_fma_f32 v[28:29], v[16:17], v[30:31], v[22:23] neg_lo:[1,0,0] neg_hi:[1,0,0]
	v_pk_fma_f32 v[22:23], v[16:17], v[30:31], v[22:23] op_sel_hi:[0,1,1]
	v_pk_add_f32 v[8:9], v[8:9], v[32:33] neg_lo:[0,1] neg_hi:[0,1]
	v_mov_b32_e32 v29, v23
	v_pk_fma_f32 v[8:9], v[16:17], v[30:31], v[8:9] op_sel_hi:[0,1,1]
	ds_write_b64 v10, v[28:29] offset:392
	ds_write_b64 v12, v[8:9] offset:5096
	ds_read_b64 v[8:9], v12 offset:4704
	ds_read_b64 v[16:17], v10 offset:784
	global_load_dwordx2 v[22:23], v[14:15], off offset:1960
	s_waitcnt lgkmcnt(0)
	v_pk_add_f32 v[26:27], v[16:17], v[8:9] neg_lo:[0,1] neg_hi:[0,1]
	v_pk_add_f32 v[8:9], v[16:17], v[8:9]
	v_mov_b32_e32 v16, v26
	v_mov_b32_e32 v17, v9
	;; [unrolled: 1-line block ×4, first 2 shown]
	s_waitcnt vmcnt(3)
	v_pk_mul_f32 v[32:33], v[16:17], v[18:19] op_sel:[0,1]
	v_mov_b32_e32 v30, v9
	v_mov_b32_e32 v31, v26
	v_pk_fma_f32 v[16:17], v[16:17], v[18:19], v[28:29] op_sel:[0,1,0]
	v_mov_b32_e32 v9, v33
	v_mov_b32_e32 v33, v27
	v_pk_fma_f32 v[28:29], v[18:19], v[30:31], v[16:17] neg_lo:[1,0,0] neg_hi:[1,0,0]
	v_pk_fma_f32 v[16:17], v[18:19], v[30:31], v[16:17] op_sel_hi:[0,1,1]
	v_pk_add_f32 v[8:9], v[8:9], v[32:33] neg_lo:[0,1] neg_hi:[0,1]
	v_mov_b32_e32 v29, v17
	v_pk_fma_f32 v[8:9], v[18:19], v[30:31], v[8:9] op_sel_hi:[0,1,1]
	ds_write_b64 v10, v[28:29] offset:784
	ds_write_b64 v12, v[8:9] offset:4704
	ds_read_b64 v[8:9], v12 offset:4312
	ds_read_b64 v[16:17], v10 offset:1176
	global_load_dwordx2 v[14:15], v[14:15], off offset:2352
	s_waitcnt lgkmcnt(0)
	v_pk_add_f32 v[18:19], v[16:17], v[8:9] neg_lo:[0,1] neg_hi:[0,1]
	v_pk_add_f32 v[8:9], v[16:17], v[8:9]
	v_mov_b32_e32 v16, v18
	v_mov_b32_e32 v17, v9
	v_mov_b32_e32 v26, v8
	v_mov_b32_e32 v27, v19
	s_waitcnt vmcnt(3)
	v_pk_mul_f32 v[30:31], v[16:17], v[20:21] op_sel:[0,1]
	v_mov_b32_e32 v28, v9
	v_mov_b32_e32 v29, v18
	v_pk_fma_f32 v[16:17], v[16:17], v[20:21], v[26:27] op_sel:[0,1,0]
	v_mov_b32_e32 v9, v31
	v_mov_b32_e32 v31, v19
	v_pk_fma_f32 v[26:27], v[20:21], v[28:29], v[16:17] neg_lo:[1,0,0] neg_hi:[1,0,0]
	v_pk_fma_f32 v[16:17], v[20:21], v[28:29], v[16:17] op_sel_hi:[0,1,1]
	v_pk_add_f32 v[8:9], v[8:9], v[30:31] neg_lo:[0,1] neg_hi:[0,1]
	v_mov_b32_e32 v27, v17
	v_pk_fma_f32 v[8:9], v[20:21], v[28:29], v[8:9] op_sel_hi:[0,1,1]
	ds_write_b64 v10, v[26:27] offset:1176
	ds_write_b64 v12, v[8:9] offset:4312
	ds_read_b64 v[8:9], v12 offset:3920
	ds_read_b64 v[16:17], v10 offset:1568
	s_waitcnt lgkmcnt(0)
	v_pk_add_f32 v[18:19], v[16:17], v[8:9] neg_lo:[0,1] neg_hi:[0,1]
	v_pk_add_f32 v[8:9], v[16:17], v[8:9]
	v_mov_b32_e32 v16, v18
	v_mov_b32_e32 v17, v9
	v_mov_b32_e32 v20, v8
	v_mov_b32_e32 v21, v19
	s_waitcnt vmcnt(2)
	v_pk_mul_f32 v[28:29], v[16:17], v[24:25] op_sel:[0,1]
	v_mov_b32_e32 v26, v9
	v_mov_b32_e32 v27, v18
	v_pk_fma_f32 v[16:17], v[16:17], v[24:25], v[20:21] op_sel:[0,1,0]
	v_mov_b32_e32 v9, v29
	v_mov_b32_e32 v29, v19
	v_pk_fma_f32 v[20:21], v[24:25], v[26:27], v[16:17] neg_lo:[1,0,0] neg_hi:[1,0,0]
	v_pk_fma_f32 v[16:17], v[24:25], v[26:27], v[16:17] op_sel_hi:[0,1,1]
	v_pk_add_f32 v[8:9], v[8:9], v[28:29] neg_lo:[0,1] neg_hi:[0,1]
	v_mov_b32_e32 v21, v17
	v_pk_fma_f32 v[8:9], v[24:25], v[26:27], v[8:9] op_sel_hi:[0,1,1]
	ds_write_b64 v10, v[20:21] offset:1568
	ds_write_b64 v12, v[8:9] offset:3920
	ds_read_b64 v[8:9], v12 offset:3528
	ds_read_b64 v[16:17], v10 offset:1960
	;; [unrolled: 23-line block ×3, first 2 shown]
	v_add_u32_e32 v8, 0x800, v10
	v_add_u32_e32 v9, 0xc00, v10
	s_waitcnt lgkmcnt(0)
	v_pk_add_f32 v[20:21], v[18:19], v[16:17] neg_lo:[0,1] neg_hi:[0,1]
	v_pk_add_f32 v[16:17], v[18:19], v[16:17]
	v_mov_b32_e32 v18, v20
	v_mov_b32_e32 v19, v17
	;; [unrolled: 1-line block ×4, first 2 shown]
	s_waitcnt vmcnt(0)
	v_pk_mul_f32 v[26:27], v[18:19], v[14:15] op_sel:[0,1]
	v_mov_b32_e32 v24, v17
	v_mov_b32_e32 v25, v20
	v_pk_fma_f32 v[18:19], v[18:19], v[14:15], v[22:23] op_sel:[0,1,0]
	v_mov_b32_e32 v17, v27
	v_mov_b32_e32 v27, v21
	v_pk_fma_f32 v[22:23], v[14:15], v[24:25], v[18:19] neg_lo:[1,0,0] neg_hi:[1,0,0]
	v_pk_fma_f32 v[18:19], v[14:15], v[24:25], v[18:19] op_sel_hi:[0,1,1]
	v_pk_add_f32 v[16:17], v[16:17], v[26:27] neg_lo:[0,1] neg_hi:[0,1]
	v_mov_b32_e32 v23, v19
	v_pk_fma_f32 v[14:15], v[14:15], v[24:25], v[16:17] op_sel_hi:[0,1,1]
	ds_write_b64 v10, v[22:23] offset:2352
	ds_write_b64 v12, v[14:15] offset:3136
	s_waitcnt lgkmcnt(0)
	; wave barrier
	s_waitcnt lgkmcnt(0)
	s_waitcnt lgkmcnt(0)
	; wave barrier
	s_waitcnt lgkmcnt(0)
	ds_read2_b64 v[12:15], v10 offset0:98 offset1:147
	ds_read2_b64 v[16:19], v10 offset0:196 offset1:245
	;; [unrolled: 1-line block ×6, first 2 shown]
	s_waitcnt lgkmcnt(2)
	v_pk_add_f32 v[40:41], v[12:13], v[24:25]
	s_waitcnt lgkmcnt(1)
	v_pk_add_f32 v[42:43], v[16:17], v[28:29]
	;; [unrolled: 2-line block ×3, first 2 shown]
	v_pk_add_f32 v[12:13], v[12:13], v[24:25] neg_lo:[0,1] neg_hi:[0,1]
	v_pk_add_f32 v[24:25], v[42:43], v[40:41]
	v_pk_add_f32 v[16:17], v[16:17], v[28:29] neg_lo:[0,1] neg_hi:[0,1]
	v_pk_add_f32 v[20:21], v[32:33], v[20:21] neg_lo:[0,1] neg_hi:[0,1]
	v_mov_b32_e32 v28, v36
	v_mov_b32_e32 v29, v41
	v_mov_b32_e32 v32, v42
	v_mov_b32_e32 v33, v37
	v_pk_add_f32 v[24:25], v[36:37], v[24:25]
	v_pk_add_f32 v[28:29], v[28:29], v[32:33] neg_lo:[0,1] neg_hi:[0,1]
	v_mov_b32_e32 v32, v40
	v_mov_b32_e32 v37, v43
	;; [unrolled: 1-line block ×6, first 2 shown]
	v_pk_add_f32 v[32:33], v[32:33], v[36:37] neg_lo:[0,1] neg_hi:[0,1]
	v_pk_add_f32 v[36:37], v[20:21], v[16:17]
	v_pk_add_f32 v[38:39], v[38:39], v[44:45] neg_lo:[0,1] neg_hi:[0,1]
	v_mov_b32_e32 v44, v13
	v_mov_b32_e32 v20, v21
	;; [unrolled: 1-line block ×3, first 2 shown]
	v_pk_add_f32 v[20:21], v[44:45], v[20:21] neg_lo:[0,1] neg_hi:[0,1]
	v_pk_add_f32 v[44:45], v[36:37], v[12:13]
	v_pk_mul_f32 v[46:47], v[38:39], s[18:19]
	v_pk_mul_f32 v[36:37], v[44:45], s[2:3] op_sel_hi:[1,0]
	v_pk_fma_f32 v[38:39], v[20:21], s[6:7], v[46:47]
	v_pk_mul_f32 v[28:29], v[28:29], s[16:17]
	v_pk_add_f32 v[48:49], v[36:37], v[38:39] op_sel:[1,0] op_sel_hi:[0,1]
	ds_read2_b64 v[36:39], v10 offset1:49
	v_pk_add_f32 v[12:13], v[16:17], v[12:13] neg_lo:[0,1] neg_hi:[0,1]
	v_pk_mul_f32 v[16:17], v[32:33], s[14:15]
	v_pk_mul_f32 v[20:21], v[20:21], s[6:7]
	v_pk_fma_f32 v[50:51], v[32:33], s[14:15], v[28:29]
	s_waitcnt lgkmcnt(0)
	v_pk_add_f32 v[36:37], v[36:37], v[24:25]
	v_pk_add_f32 v[40:41], v[42:43], v[40:41] neg_lo:[0,1] neg_hi:[0,1]
	v_pk_fma_f32 v[24:25], v[24:25], s[12:13], v[36:37] op_sel_hi:[1,0,1] neg_lo:[1,0,0] neg_hi:[1,0,0]
	v_mov_b32_e32 v32, v16
	v_mov_b32_e32 v33, v29
	;; [unrolled: 1-line block ×7, first 2 shown]
	v_pk_add_f32 v[50:51], v[50:51], v[24:25]
	v_pk_fma_f32 v[32:33], v[40:41], s[10:11], v[32:33] op_sel_hi:[1,0,1] neg_lo:[1,0,1] neg_hi:[1,0,1]
	v_pk_fma_f32 v[42:43], v[12:13], s[8:9], v[42:43] op_sel_hi:[1,0,1] neg_lo:[1,0,1] neg_hi:[1,0,1]
	;; [unrolled: 1-line block ×4, first 2 shown]
	v_pk_add_f32 v[52:53], v[50:51], v[48:49]
	v_pk_add_f32 v[48:49], v[50:51], v[48:49] neg_lo:[0,1] neg_hi:[0,1]
	v_pk_add_f32 v[32:33], v[32:33], v[24:25]
	v_pk_fma_f32 v[42:43], v[44:45], s[2:3], v[42:43] op_sel_hi:[1,0,1]
	v_pk_add_f32 v[16:17], v[16:17], v[24:25]
	v_pk_fma_f32 v[12:13], v[44:45], s[2:3], v[12:13] op_sel_hi:[1,0,1]
	v_pk_add_f32 v[50:51], v[32:33], v[42:43] op_sel:[0,1] op_sel_hi:[1,0]
	v_pk_add_f32 v[32:33], v[32:33], v[42:43] op_sel:[0,1] op_sel_hi:[1,0] neg_lo:[0,1] neg_hi:[0,1]
	v_mad_u32_u24 v40, v2, 48, v10
	v_pk_add_f32 v[20:21], v[16:17], v[12:13] op_sel:[0,1] op_sel_hi:[1,0] neg_lo:[0,1] neg_hi:[0,1]
	v_pk_add_f32 v[12:13], v[16:17], v[12:13] op_sel:[0,1] op_sel_hi:[1,0]
	v_mov_b32_e32 v28, v52
	v_mov_b32_e32 v29, v49
	s_waitcnt lgkmcnt(0)
	; wave barrier
	ds_write2_b64 v40, v[36:37], v[28:29] offset1:1
	v_mov_b32_e32 v28, v50
	v_mov_b32_e32 v29, v33
	;; [unrolled: 1-line block ×4, first 2 shown]
	v_pk_add_f32 v[16:17], v[14:15], v[26:27]
	v_pk_add_f32 v[24:25], v[18:19], v[30:31]
	ds_write2_b64 v40, v[28:29], v[36:37] offset0:2 offset1:3
	v_pk_add_f32 v[28:29], v[22:23], v[34:35]
	v_mov_b32_e32 v13, v21
	v_mov_b32_e32 v33, v51
	v_pk_add_f32 v[36:37], v[24:25], v[16:17]
	ds_write2_b64 v40, v[12:13], v[32:33] offset0:4 offset1:5
	v_pk_add_f32 v[12:13], v[14:15], v[26:27] neg_lo:[0,1] neg_hi:[0,1]
	v_pk_add_f32 v[14:15], v[18:19], v[30:31] neg_lo:[0,1] neg_hi:[0,1]
	v_pk_add_f32 v[18:19], v[34:35], v[22:23] neg_lo:[0,1] neg_hi:[0,1]
	v_mov_b32_e32 v20, v28
	v_mov_b32_e32 v21, v17
	;; [unrolled: 1-line block ×4, first 2 shown]
	v_pk_add_f32 v[36:37], v[28:29], v[36:37]
	v_pk_add_f32 v[20:21], v[20:21], v[22:23] neg_lo:[0,1] neg_hi:[0,1]
	v_mov_b32_e32 v22, v16
	v_mov_b32_e32 v29, v25
	v_pk_add_f32 v[22:23], v[22:23], v[28:29] neg_lo:[0,1] neg_hi:[0,1]
	v_mov_b32_e32 v28, v19
	v_mov_b32_e32 v29, v12
	;; [unrolled: 1-line block ×4, first 2 shown]
	v_pk_add_f32 v[26:27], v[18:19], v[14:15]
	v_pk_add_f32 v[28:29], v[28:29], v[30:31] neg_lo:[0,1] neg_hi:[0,1]
	v_mov_b32_e32 v30, v13
	v_mov_b32_e32 v18, v19
	;; [unrolled: 1-line block ×3, first 2 shown]
	v_pk_add_f32 v[38:39], v[38:39], v[36:37]
	v_pk_add_f32 v[18:19], v[30:31], v[18:19] neg_lo:[0,1] neg_hi:[0,1]
	v_pk_add_f32 v[26:27], v[26:27], v[12:13]
	v_pk_mul_f32 v[20:21], v[20:21], s[16:17]
	v_pk_mul_f32 v[28:29], v[28:29], s[18:19]
	;; [unrolled: 1-line block ×3, first 2 shown]
	v_pk_mul_f32 v[32:33], v[26:27], s[2:3] op_sel_hi:[1,0]
	v_pk_mul_f32 v[34:35], v[18:19], s[6:7]
	v_pk_fma_f32 v[36:37], v[36:37], s[12:13], v[38:39] op_sel_hi:[1,0,1] neg_lo:[1,0,0] neg_hi:[1,0,0]
	v_pk_fma_f32 v[22:23], v[22:23], s[14:15], v[20:21]
	v_pk_fma_f32 v[18:19], v[18:19], s[6:7], v[28:29]
	v_pk_add_f32 v[22:23], v[22:23], v[36:37]
	v_pk_add_f32 v[18:19], v[32:33], v[18:19] op_sel:[1,0] op_sel_hi:[0,1]
	v_pk_add_f32 v[32:33], v[22:23], v[18:19]
	v_pk_add_f32 v[18:19], v[22:23], v[18:19] neg_lo:[0,1] neg_hi:[0,1]
	v_add_u32_e32 v41, 0xab8, v40
	v_mov_b32_e32 v22, v32
	v_mov_b32_e32 v23, v19
	v_pk_add_f32 v[16:17], v[24:25], v[16:17] neg_lo:[0,1] neg_hi:[0,1]
	v_pk_add_f32 v[12:13], v[14:15], v[12:13] neg_lo:[0,1] neg_hi:[0,1]
	v_mov_b32_e32 v14, v30
	v_mov_b32_e32 v15, v21
	;; [unrolled: 1-line block ×3, first 2 shown]
	ds_write2_b64 v41, v[38:39], v[22:23] offset1:1
	v_pk_fma_f32 v[14:15], v[16:17], s[10:11], v[14:15] op_sel_hi:[1,0,1] neg_lo:[1,0,1] neg_hi:[1,0,1]
	v_mov_b32_e32 v22, v29
	v_mov_b32_e32 v23, v34
	v_pk_fma_f32 v[16:17], v[16:17], s[10:11], v[20:21] op_sel_hi:[1,0,1] neg_lo:[0,0,1] neg_hi:[0,0,1]
	v_mov_b32_e32 v20, v35
	v_mov_b32_e32 v21, v28
	v_pk_fma_f32 v[22:23], v[12:13], s[8:9], v[22:23] op_sel_hi:[1,0,1] neg_lo:[1,0,1] neg_hi:[1,0,1]
	v_pk_fma_f32 v[12:13], v[12:13], s[8:9], v[20:21] op_sel_hi:[1,0,1] neg_lo:[0,0,1] neg_hi:[0,0,1]
	v_pk_add_f32 v[14:15], v[14:15], v[36:37]
	v_pk_fma_f32 v[22:23], v[26:27], s[2:3], v[22:23] op_sel_hi:[1,0,1]
	v_pk_add_f32 v[16:17], v[16:17], v[36:37]
	v_pk_fma_f32 v[12:13], v[26:27], s[2:3], v[12:13] op_sel_hi:[1,0,1]
	v_pk_add_f32 v[24:25], v[14:15], v[22:23] op_sel:[0,1] op_sel_hi:[1,0]
	v_pk_add_f32 v[14:15], v[14:15], v[22:23] op_sel:[0,1] op_sel_hi:[1,0] neg_lo:[0,1] neg_hi:[0,1]
	v_pk_add_f32 v[20:21], v[16:17], v[12:13] op_sel:[0,1] op_sel_hi:[1,0] neg_lo:[0,1] neg_hi:[0,1]
	v_pk_add_f32 v[12:13], v[16:17], v[12:13] op_sel:[0,1] op_sel_hi:[1,0]
	v_add_u32_e32 v19, 0xac8, v40
	v_mov_b32_e32 v16, v24
	v_mov_b32_e32 v17, v15
	;; [unrolled: 1-line block ×4, first 2 shown]
	ds_write2_b64 v19, v[16:17], v[22:23] offset1:1
	v_add_u32_e32 v16, 0xad8, v40
	v_mov_b32_e32 v13, v21
	v_mov_b32_e32 v15, v25
	ds_write2_b64 v16, v[12:13], v[14:15] offset1:1
	v_mov_b32_e32 v12, 37
	v_mul_lo_u16_sdwa v16, v2, v12 dst_sel:DWORD dst_unused:UNUSED_PAD src0_sel:BYTE_0 src1_sel:DWORD
	v_sub_u16_sdwa v13, v2, v16 dst_sel:DWORD dst_unused:UNUSED_PAD src0_sel:DWORD src1_sel:BYTE_1
	v_lshrrev_b16_e32 v17, 1, v13
	v_add_u16_e32 v13, 49, v2
	v_mul_lo_u16_sdwa v12, v13, v12 dst_sel:DWORD dst_unused:UNUSED_PAD src0_sel:BYTE_0 src1_sel:DWORD
	v_sub_u16_sdwa v14, v13, v12 dst_sel:DWORD dst_unused:UNUSED_PAD src0_sel:DWORD src1_sel:BYTE_1
	v_lshrrev_b16_e32 v14, 1, v14
	v_and_b32_e32 v14, 0x7f, v14
	v_add_u16_sdwa v12, v14, v12 dst_sel:DWORD dst_unused:UNUSED_PAD src0_sel:DWORD src1_sel:BYTE_1
	v_lshrrev_b16_e32 v74, 2, v12
	v_mov_b32_e32 v19, v33
	v_mul_lo_u16_e32 v12, 7, v74
	ds_write_b64 v40, v[18:19] offset:2792
	v_mov_b32_e32 v18, 6
	v_sub_u16_e32 v75, v13, v12
	v_mul_u32_u24_sdwa v12, v75, v18 dst_sel:DWORD dst_unused:UNUSED_PAD src0_sel:BYTE_0 src1_sel:DWORD
	v_mov_b32_e32 v49, v53
	v_lshlrev_b32_e32 v36, 3, v12
	v_and_b32_e32 v17, 0x7f, v17
	ds_write_b64 v40, v[48:49] offset:48
	s_waitcnt lgkmcnt(0)
	; wave barrier
	s_waitcnt lgkmcnt(0)
	global_load_dwordx4 v[12:15], v36, s[4:5]
	v_add_u16_sdwa v16, v17, v16 dst_sel:DWORD dst_unused:UNUSED_PAD src0_sel:DWORD src1_sel:BYTE_1
	v_lshrrev_b16_e32 v76, 2, v16
	v_mul_lo_u16_e32 v16, 7, v76
	v_sub_u16_e32 v77, v2, v16
	v_mul_u32_u24_sdwa v16, v77, v18 dst_sel:DWORD dst_unused:UNUSED_PAD src0_sel:BYTE_0 src1_sel:DWORD
	v_lshlrev_b32_e32 v37, 3, v16
	global_load_dwordx4 v[16:19], v37, s[4:5]
	global_load_dwordx4 v[20:23], v36, s[4:5] offset:32
	global_load_dwordx4 v[24:27], v37, s[4:5] offset:32
	;; [unrolled: 1-line block ×4, first 2 shown]
	ds_read2_b64 v[36:39], v10 offset0:98 offset1:147
	ds_read2_b64 v[40:43], v10 offset0:196 offset1:245
	;; [unrolled: 1-line block ×4, first 2 shown]
	s_waitcnt lgkmcnt(3)
	v_mov_b32_e32 v52, v39
	s_waitcnt vmcnt(5)
	v_pk_mul_f32 v[54:55], v[38:39], v[12:13] op_sel_hi:[0,1]
	v_pk_fma_f32 v[52:53], v[52:53], v[12:13], v[54:55] op_sel:[0,0,1] op_sel_hi:[1,1,0] neg_lo:[0,0,1] neg_hi:[0,0,1]
	v_pk_fma_f32 v[38:39], v[38:39], v[12:13], v[54:55] op_sel:[1,0,1] op_sel_hi:[1,1,0]
	s_waitcnt lgkmcnt(2)
	v_mov_b32_e32 v12, v43
	v_pk_mul_f32 v[54:55], v[42:43], v[14:15] op_sel_hi:[0,1]
	v_pk_fma_f32 v[56:57], v[12:13], v[14:15], v[54:55] op_sel:[0,0,1] op_sel_hi:[1,1,0] neg_lo:[0,0,1] neg_hi:[0,0,1]
	v_pk_fma_f32 v[42:43], v[42:43], v[14:15], v[54:55] op_sel:[1,0,1] op_sel_hi:[1,1,0]
	v_mov_b32_e32 v12, v37
	s_waitcnt vmcnt(4)
	v_pk_mul_f32 v[14:15], v[16:17], v[36:37] op_sel_hi:[1,0]
	v_mov_b32_e32 v53, v39
	v_pk_fma_f32 v[54:55], v[16:17], v[12:13], v[14:15] op_sel:[0,0,1] op_sel_hi:[1,1,0] neg_lo:[0,0,1] neg_hi:[0,0,1]
	v_pk_fma_f32 v[36:37], v[16:17], v[36:37], v[14:15] op_sel:[0,1,1] op_sel_hi:[1,1,0]
	v_mov_b32_e32 v12, v41
	v_pk_mul_f32 v[14:15], v[18:19], v[40:41] op_sel_hi:[1,0]
	s_waitcnt lgkmcnt(1)
	v_mov_b32_e32 v16, v47
	v_pk_fma_f32 v[58:59], v[18:19], v[12:13], v[14:15] op_sel:[0,0,1] op_sel_hi:[1,1,0] neg_lo:[0,0,1] neg_hi:[0,0,1]
	s_waitcnt vmcnt(3)
	v_pk_mul_f32 v[12:13], v[46:47], v[20:21] op_sel_hi:[0,1]
	v_pk_fma_f32 v[40:41], v[18:19], v[40:41], v[14:15] op_sel:[0,1,1] op_sel_hi:[1,1,0]
	v_pk_fma_f32 v[60:61], v[16:17], v[20:21], v[12:13] op_sel:[0,0,1] op_sel_hi:[1,1,0] neg_lo:[0,0,1] neg_hi:[0,0,1]
	v_pk_fma_f32 v[20:21], v[46:47], v[20:21], v[12:13] op_sel:[1,0,1] op_sel_hi:[1,1,0]
	s_waitcnt lgkmcnt(0)
	v_mov_b32_e32 v12, v51
	v_pk_mul_f32 v[14:15], v[50:51], v[22:23] op_sel_hi:[0,1]
	v_pk_fma_f32 v[46:47], v[12:13], v[22:23], v[14:15] op_sel:[0,0,1] op_sel_hi:[1,1,0] neg_lo:[0,0,1] neg_hi:[0,0,1]
	v_pk_fma_f32 v[22:23], v[50:51], v[22:23], v[14:15] op_sel:[1,0,1] op_sel_hi:[1,1,0]
	v_mov_b32_e32 v12, v45
	s_waitcnt vmcnt(2)
	v_pk_mul_f32 v[14:15], v[44:45], v[24:25] op_sel_hi:[0,1]
	v_pk_fma_f32 v[50:51], v[12:13], v[24:25], v[14:15] op_sel:[0,0,1] op_sel_hi:[1,1,0] neg_lo:[0,0,1] neg_hi:[0,0,1]
	v_pk_fma_f32 v[24:25], v[44:45], v[24:25], v[14:15] op_sel:[1,0,1] op_sel_hi:[1,1,0]
	ds_read2_b64 v[12:15], v8 offset0:38 offset1:87
	ds_read2_b64 v[16:19], v8 offset0:136 offset1:185
	v_mov_b32_e32 v20, v49
	v_pk_mul_f32 v[44:45], v[48:49], v[26:27] op_sel_hi:[0,1]
	v_pk_fma_f32 v[48:49], v[48:49], v[26:27], v[44:45] op_sel:[1,0,1] op_sel_hi:[1,1,0]
	v_pk_fma_f32 v[26:27], v[20:21], v[26:27], v[44:45] op_sel:[0,0,1] op_sel_hi:[1,1,0] neg_lo:[0,0,1] neg_hi:[0,0,1]
	s_waitcnt vmcnt(1) lgkmcnt(1)
	v_mul_f32_e32 v20, v29, v12
	v_fma_f32 v24, v28, v13, -v20
	s_waitcnt lgkmcnt(0)
	v_mul_f32_e32 v20, v31, v16
	v_fma_f32 v36, v30, v17, -v20
	s_waitcnt vmcnt(0)
	v_mov_b32_e32 v20, v33
	v_pk_mul_f32 v[62:63], v[14:15], v[32:33] op_sel:[1,0] op_sel_hi:[0,1]
	v_mul_f32_e32 v12, v28, v12
	v_mul_f32_e32 v28, v29, v13
	;; [unrolled: 1-line block ×4, first 2 shown]
	v_pk_mul_f32 v[44:45], v[14:15], v[20:21] op_sel:[1,0] op_sel_hi:[0,1]
	v_mov_b32_e32 v20, v63
	v_mov_b32_e32 v17, v54
	;; [unrolled: 1-line block ×5, first 2 shown]
	v_pk_fma_f32 v[62:63], v[14:15], v[32:33], v[20:21] op_sel:[1,0,0] op_sel_hi:[0,1,1] neg_lo:[0,0,1] neg_hi:[0,0,1]
	v_pk_mul_f32 v[32:33], v[14:15], v[32:33]
	v_pk_mul_f32 v[14:15], v[18:19], v[34:35] op_sel:[1,0] op_sel_hi:[0,1]
	v_pk_add_f32 v[16:17], v[16:17], v[30:31]
	v_pk_add_f32 v[28:29], v[12:13], v[28:29]
	v_mov_b32_e32 v14, v15
	v_mov_b32_e32 v55, v37
	;; [unrolled: 1-line block ×7, first 2 shown]
	v_pk_fma_f32 v[64:65], v[18:19], v[34:35], v[14:15] op_sel:[1,0,0] op_sel_hi:[0,1,1] neg_lo:[0,0,1] neg_hi:[0,0,1]
	v_mov_b32_e32 v14, v35
	v_pk_add_f32 v[40:41], v[54:55], v[26:27] neg_lo:[0,1] neg_hi:[0,1]
	v_pk_add_f32 v[30:31], v[58:59], v[50:51] neg_lo:[0,1] neg_hi:[0,1]
	;; [unrolled: 1-line block ×3, first 2 shown]
	v_pk_mul_f32 v[66:67], v[18:19], v[34:35]
	v_pk_mul_f32 v[18:19], v[18:19], v[14:15] op_sel:[1,0] op_sel_hi:[0,1]
	v_pk_add_f32 v[34:35], v[54:55], v[26:27]
	v_pk_add_f32 v[26:27], v[58:59], v[50:51]
	v_mov_b32_e32 v14, v12
	v_mov_b32_e32 v15, v41
	v_mov_b32_e32 v48, v30
	v_mov_b32_e32 v49, v13
	v_pk_add_f32 v[14:15], v[14:15], v[48:49] neg_lo:[0,1] neg_hi:[0,1]
	v_mov_b32_e32 v48, v40
	v_mov_b32_e32 v50, v12
	v_mov_b32_e32 v51, v31
	v_mov_b32_e32 v25, v24
	v_mov_b32_e32 v24, v27
	v_mov_b32_e32 v37, v36
	v_mov_b32_e32 v36, v35
	v_pk_add_f32 v[12:13], v[12:13], v[30:31]
	v_pk_add_f32 v[48:49], v[48:49], v[50:51] neg_lo:[0,1] neg_hi:[0,1]
	v_pk_add_f32 v[24:25], v[24:25], v[36:37]
	v_pk_add_f32 v[50:51], v[12:13], v[40:41]
	;; [unrolled: 1-line block ×3, first 2 shown]
	v_pk_mul_f32 v[36:37], v[14:15], s[18:19]
	v_mov_b32_e32 v16, v12
	v_mov_b32_e32 v14, v27
	;; [unrolled: 1-line block ×3, first 2 shown]
	v_pk_add_f32 v[14:15], v[16:17], v[14:15] neg_lo:[0,1] neg_hi:[0,1]
	v_mov_b32_e32 v28, v12
	v_pk_add_f32 v[54:55], v[24:25], v[12:13]
	v_pk_mul_f32 v[58:59], v[14:15], s[16:17]
	ds_read2_b64 v[12:15], v10 offset1:49
	v_mov_b32_e32 v24, v35
	v_mul_u32_u24_e32 v16, 0x188, v76
	v_mov_b32_e32 v76, 3
	v_pk_add_f32 v[24:25], v[24:25], v[28:29] neg_lo:[0,1] neg_hi:[0,1]
	v_lshlrev_b32_sdwa v19, v76, v77 dst_sel:DWORD dst_unused:UNUSED_PAD src0_sel:DWORD src1_sel:BYTE_0
	s_waitcnt lgkmcnt(0)
	v_pk_add_f32 v[12:13], v[54:55], v[12:13]
	v_pk_fma_f32 v[68:69], v[24:25], s[14:15], v[58:59]
	v_add3_u32 v77, 0, v16, v19
	v_mov_b32_e32 v28, v27
	v_mov_b32_e32 v16, v35
	v_pk_mul_f32 v[26:27], v[48:49], s[6:7]
	v_pk_mul_f32 v[24:25], v[24:25], s[14:15]
	v_pk_fma_f32 v[54:55], v[54:55], s[12:13], v[12:13] op_sel_hi:[1,0,1] neg_lo:[1,0,0] neg_hi:[1,0,0]
	v_pk_fma_f32 v[70:71], v[48:49], s[6:7], v[36:37]
	v_pk_add_f32 v[30:31], v[30:31], v[40:41] neg_lo:[0,1] neg_hi:[0,1]
	v_pk_add_f32 v[16:17], v[28:29], v[16:17] neg_lo:[0,1] neg_hi:[0,1]
	v_mov_b32_e32 v28, v24
	v_mov_b32_e32 v29, v59
	;; [unrolled: 1-line block ×6, first 2 shown]
	v_pk_add_f32 v[68:69], v[68:69], v[54:55]
	v_pk_fma_f32 v[70:71], v[50:51], s[2:3], v[70:71] op_sel_hi:[1,0,1]
	v_pk_fma_f32 v[28:29], v[16:17], s[10:11], v[28:29] op_sel_hi:[1,0,1] neg_lo:[1,0,1] neg_hi:[1,0,1]
	v_pk_fma_f32 v[34:35], v[30:31], s[8:9], v[34:35] op_sel_hi:[1,0,1] neg_lo:[1,0,1] neg_hi:[1,0,1]
	;; [unrolled: 1-line block ×4, first 2 shown]
	v_pk_add_f32 v[72:73], v[68:69], v[70:71]
	v_pk_add_f32 v[68:69], v[68:69], v[70:71] neg_lo:[0,1] neg_hi:[0,1]
	v_pk_add_f32 v[28:29], v[28:29], v[54:55]
	v_pk_fma_f32 v[34:35], v[50:51], s[2:3], v[34:35] op_sel_hi:[1,0,1]
	v_pk_add_f32 v[16:17], v[16:17], v[54:55]
	v_pk_fma_f32 v[30:31], v[50:51], s[2:3], v[30:31] op_sel_hi:[1,0,1]
	v_mov_b32_e32 v70, v72
	v_mov_b32_e32 v71, v69
	;; [unrolled: 1-line block ×9, first 2 shown]
	v_pk_add_f32 v[40:41], v[28:29], v[34:35]
	v_pk_add_f32 v[28:29], v[28:29], v[34:35] neg_lo:[0,1] neg_hi:[0,1]
	v_pk_add_f32 v[36:37], v[16:17], v[30:31] neg_lo:[0,1] neg_hi:[0,1]
	v_pk_add_f32 v[16:17], v[16:17], v[30:31]
	s_waitcnt lgkmcnt(0)
	; wave barrier
	ds_write2_b64 v77, v[12:13], v[70:71] offset1:7
	v_pk_add_f32 v[12:13], v[52:53], v[46:47]
	v_pk_add_f32 v[18:19], v[66:67], v[18:19]
	;; [unrolled: 1-line block ×4, first 2 shown]
	v_mov_b32_e32 v26, v40
	v_mov_b32_e32 v27, v29
	;; [unrolled: 1-line block ×8, first 2 shown]
	ds_write2_b64 v77, v[26:27], v[30:31] offset0:14 offset1:21
	ds_write2_b64 v77, v[16:17], v[28:29] offset0:28 offset1:35
	v_mov_b32_e32 v16, v23
	v_mov_b32_e32 v17, v62
	;; [unrolled: 1-line block ×4, first 2 shown]
	v_pk_add_f32 v[20:21], v[52:53], v[46:47] neg_lo:[0,1] neg_hi:[0,1]
	v_pk_add_f32 v[38:39], v[56:57], v[60:61] neg_lo:[0,1] neg_hi:[0,1]
	;; [unrolled: 1-line block ×3, first 2 shown]
	v_pk_add_f32 v[16:17], v[16:17], v[26:27]
	v_pk_add_f32 v[26:27], v[32:33], v[18:19]
	v_mov_b32_e32 v44, v42
	v_mov_b32_e32 v45, v21
	;; [unrolled: 1-line block ×7, first 2 shown]
	v_pk_add_f32 v[44:45], v[44:45], v[46:47] neg_lo:[0,1] neg_hi:[0,1]
	v_mov_b32_e32 v46, v20
	v_mov_b32_e32 v52, v42
	;; [unrolled: 1-line block ×3, first 2 shown]
	v_pk_add_f32 v[28:29], v[18:19], v[28:29] neg_lo:[0,1] neg_hi:[0,1]
	v_mov_b32_e32 v30, v13
	v_mov_b32_e32 v31, v17
	v_mov_b32_e32 v32, v26
	v_pk_add_f32 v[16:17], v[16:17], v[26:27]
	v_pk_add_f32 v[46:47], v[46:47], v[52:53] neg_lo:[0,1] neg_hi:[0,1]
	v_pk_mul_f32 v[24:25], v[44:45], s[18:19]
	v_pk_add_f32 v[42:43], v[42:43], v[38:39]
	v_pk_add_f32 v[30:31], v[30:31], v[32:33] neg_lo:[0,1] neg_hi:[0,1]
	v_pk_add_f32 v[14:15], v[16:17], v[14:15]
	v_pk_mul_f32 v[26:27], v[28:29], s[16:17]
	v_pk_add_f32 v[42:43], v[42:43], v[20:21]
	v_pk_mul_f32 v[28:29], v[30:31], s[14:15]
	v_pk_fma_f32 v[16:17], v[16:17], s[12:13], v[14:15] op_sel_hi:[1,0,1] neg_lo:[1,0,0] neg_hi:[1,0,0]
	v_pk_fma_f32 v[30:31], v[30:31], s[14:15], v[26:27]
	v_pk_fma_f32 v[36:37], v[46:47], s[6:7], v[24:25]
	v_pk_add_f32 v[30:31], v[30:31], v[16:17]
	v_pk_fma_f32 v[36:37], v[42:43], s[2:3], v[36:37] op_sel_hi:[1,0,1]
	v_lshlrev_b32_sdwa v12, v76, v75 dst_sel:DWORD dst_unused:UNUSED_PAD src0_sel:DWORD src1_sel:BYTE_0
	v_mul_u32_u24_e32 v22, 0x188, v74
	v_pk_add_f32 v[40:41], v[30:31], v[36:37]
	v_pk_add_f32 v[30:31], v[30:31], v[36:37] neg_lo:[0,1] neg_hi:[0,1]
	v_add3_u32 v48, 0, v22, v12
	v_pk_mul_f32 v[34:35], v[46:47], s[6:7]
	v_mov_b32_e32 v69, v73
	v_mov_b32_e32 v36, v40
	;; [unrolled: 1-line block ×5, first 2 shown]
	ds_write_b64 v77, v[68:69] offset:336
	ds_write2_b64 v48, v[14:15], v[36:37] offset1:7
	v_pk_add_f32 v[14:15], v[38:39], v[20:21] neg_lo:[0,1] neg_hi:[0,1]
	v_pk_add_f32 v[12:13], v[32:33], v[18:19] neg_lo:[0,1] neg_hi:[0,1]
	v_mov_b32_e32 v18, v28
	v_mov_b32_e32 v19, v27
	;; [unrolled: 1-line block ×6, first 2 shown]
	v_pk_fma_f32 v[18:19], v[12:13], s[10:11], v[18:19] op_sel_hi:[1,0,1] neg_lo:[1,0,1] neg_hi:[1,0,1]
	v_pk_fma_f32 v[20:21], v[14:15], s[8:9], v[20:21] op_sel_hi:[1,0,1] neg_lo:[1,0,1] neg_hi:[1,0,1]
	;; [unrolled: 1-line block ×4, first 2 shown]
	v_pk_add_f32 v[18:19], v[18:19], v[16:17]
	v_pk_fma_f32 v[20:21], v[42:43], s[2:3], v[20:21] op_sel_hi:[1,0,1]
	v_pk_add_f32 v[12:13], v[12:13], v[16:17]
	v_pk_fma_f32 v[14:15], v[42:43], s[2:3], v[14:15] op_sel_hi:[1,0,1]
	v_pk_add_f32 v[22:23], v[18:19], v[20:21]
	v_pk_add_f32 v[18:19], v[18:19], v[20:21] neg_lo:[0,1] neg_hi:[0,1]
	v_pk_add_f32 v[16:17], v[12:13], v[14:15] neg_lo:[0,1] neg_hi:[0,1]
	v_pk_add_f32 v[12:13], v[12:13], v[14:15]
	v_mov_b32_e32 v21, v19
	v_mov_b32_e32 v15, v13
	v_mov_b32_e32 v13, v17
	v_mov_b32_e32 v19, v23
	ds_write2_b64 v48, v[12:13], v[18:19] offset0:28 offset1:35
	v_mul_u32_u24_e32 v12, 6, v2
	v_mov_b32_e32 v20, v22
	v_mov_b32_e32 v14, v16
	;; [unrolled: 1-line block ×3, first 2 shown]
	v_lshlrev_b32_e32 v24, 3, v12
	ds_write2_b64 v48, v[20:21], v[14:15] offset0:14 offset1:21
	ds_write_b64 v48, v[30:31] offset:336
	s_waitcnt lgkmcnt(0)
	; wave barrier
	s_waitcnt lgkmcnt(0)
	global_load_dwordx4 v[12:15], v24, s[4:5] offset:352
	global_load_dwordx4 v[16:19], v24, s[4:5] offset:336
	;; [unrolled: 1-line block ×3, first 2 shown]
	ds_read2_b64 v[24:27], v8 offset0:38 offset1:87
	ds_read2_b64 v[28:31], v10 offset0:98 offset1:147
	ds_read2_b64 v[32:35], v10 offset0:196 offset1:245
	ds_read2_b64 v[36:39], v8 offset0:136 offset1:185
	ds_read2_b64 v[40:43], v9 offset0:106 offset1:155
	s_waitcnt vmcnt(2) lgkmcnt(4)
	v_pk_mul_f32 v[52:53], v[26:27], v[12:13] op_sel:[1,0] op_sel_hi:[0,1]
	v_mul_f32_e32 v44, v12, v24
	v_mul_f32_e32 v24, v13, v24
	v_mov_b32_e32 v52, v53
	v_fma_f32 v24, v12, v25, -v24
	v_pk_mul_f32 v[48:49], v[26:27], v[12:13]
	v_mov_b32_e32 v50, v13
	v_pk_fma_f32 v[52:53], v[26:27], v[12:13], v[52:53] op_sel:[1,0,0] op_sel_hi:[0,1,1] neg_lo:[0,0,1] neg_hi:[0,0,1]
	s_waitcnt lgkmcnt(1)
	v_mul_f32_e32 v12, v15, v36
	v_mul_f32_e32 v46, v13, v25
	v_pk_mul_f32 v[50:51], v[26:27], v[50:51] op_sel:[1,0] op_sel_hi:[0,1]
	v_mul_f32_e32 v26, v14, v36
	v_fma_f32 v36, v14, v37, -v12
	v_pk_mul_f32 v[12:13], v[38:39], v[14:15] op_sel:[1,0] op_sel_hi:[0,1]
	v_mov_b32_e32 v12, v13
	v_pk_fma_f32 v[58:59], v[38:39], v[14:15], v[12:13] op_sel:[1,0,0] op_sel_hi:[0,1,1] neg_lo:[0,0,1] neg_hi:[0,0,1]
	v_mov_b32_e32 v12, v15
	v_mul_f32_e32 v54, v15, v37
	v_pk_mul_f32 v[56:57], v[38:39], v[14:15]
	v_pk_mul_f32 v[38:39], v[38:39], v[12:13] op_sel:[1,0] op_sel_hi:[0,1]
	v_mov_b32_e32 v12, v29
	s_waitcnt vmcnt(1)
	v_pk_mul_f32 v[14:15], v[16:17], v[28:29] op_sel_hi:[1,0]
	s_waitcnt vmcnt(0) lgkmcnt(0)
	v_pk_mul_f32 v[62:63], v[20:21], v[40:41] op_sel_hi:[1,0]
	v_pk_fma_f32 v[60:61], v[16:17], v[12:13], v[14:15] op_sel:[0,0,1] op_sel_hi:[1,1,0] neg_lo:[0,0,1] neg_hi:[0,0,1]
	v_pk_fma_f32 v[12:13], v[16:17], v[28:29], v[14:15] op_sel:[0,1,1] op_sel_hi:[1,1,0]
	v_pk_mul_f32 v[14:15], v[18:19], v[32:33] op_sel_hi:[1,0]
	v_mov_b32_e32 v12, v33
	v_mov_b32_e32 v61, v13
	v_pk_fma_f32 v[28:29], v[18:19], v[12:13], v[14:15] op_sel:[0,0,1] op_sel_hi:[1,1,0] neg_lo:[0,0,1] neg_hi:[0,0,1]
	v_pk_fma_f32 v[12:13], v[18:19], v[32:33], v[14:15] op_sel:[0,1,1] op_sel_hi:[1,1,0]
	v_mov_b32_e32 v32, v41
	v_mov_b32_e32 v29, v13
	ds_read2_b64 v[12:15], v11 offset0:76 offset1:125
	v_pk_fma_f32 v[40:41], v[20:21], v[40:41], v[62:63] op_sel:[0,1,1] op_sel_hi:[1,1,0]
	v_pk_fma_f32 v[32:33], v[20:21], v[32:33], v[62:63] op_sel:[0,0,1] op_sel_hi:[1,1,0] neg_lo:[0,0,1] neg_hi:[0,0,1]
	v_mov_b32_e32 v27, v60
	v_mov_b32_e32 v33, v41
	s_waitcnt lgkmcnt(0)
	v_mov_b32_e32 v40, v13
	v_pk_mul_f32 v[62:63], v[12:13], v[22:23] op_sel_hi:[0,1]
	v_pk_fma_f32 v[40:41], v[40:41], v[22:23], v[62:63] op_sel:[0,0,1] op_sel_hi:[1,1,0] neg_lo:[0,0,1] neg_hi:[0,0,1]
	v_pk_fma_f32 v[12:13], v[12:13], v[22:23], v[62:63] op_sel:[1,0,1] op_sel_hi:[1,1,0]
	v_mov_b32_e32 v55, v40
	v_mov_b32_e32 v41, v13
	;; [unrolled: 1-line block ×4, first 2 shown]
	v_pk_add_f32 v[12:13], v[60:61], v[40:41]
	v_pk_add_f32 v[60:61], v[60:61], v[40:41] neg_lo:[0,1] neg_hi:[0,1]
	v_pk_add_f32 v[40:41], v[26:27], v[54:55]
	v_pk_add_f32 v[54:55], v[28:29], v[32:33]
	v_pk_add_f32 v[28:29], v[28:29], v[32:33] neg_lo:[0,1] neg_hi:[0,1]
	v_pk_add_f32 v[32:33], v[44:45], v[46:47]
	v_mov_b32_e32 v37, v40
	v_mov_b32_e32 v25, v32
	v_pk_add_f32 v[26:27], v[36:37], v[24:25] neg_lo:[0,1] neg_hi:[0,1]
	v_mov_b32_e32 v45, v61
	v_mov_b32_e32 v44, v26
	;; [unrolled: 1-line block ×4, first 2 shown]
	v_pk_add_f32 v[44:45], v[44:45], v[46:47] neg_lo:[0,1] neg_hi:[0,1]
	v_mov_b32_e32 v62, v26
	v_mov_b32_e32 v25, v24
	;; [unrolled: 1-line block ×5, first 2 shown]
	v_pk_add_f32 v[26:27], v[26:27], v[28:29]
	v_pk_add_f32 v[24:25], v[24:25], v[36:37]
	v_pk_mul_f32 v[36:37], v[44:45], s[18:19]
	v_pk_add_f32 v[44:45], v[26:27], v[60:61]
	v_pk_add_f32 v[26:27], v[32:33], v[40:41]
	v_mov_b32_e32 v46, v60
	v_mov_b32_e32 v63, v29
	;; [unrolled: 1-line block ×3, first 2 shown]
	v_pk_add_f32 v[64:65], v[24:25], v[26:27]
	v_mov_b32_e32 v24, v13
	v_pk_add_f32 v[46:47], v[46:47], v[62:63] neg_lo:[0,1] neg_hi:[0,1]
	v_mov_b32_e32 v40, v26
	v_mov_b32_e32 v63, v25
	v_pk_add_f32 v[66:67], v[24:25], v[32:33] neg_lo:[0,1] neg_hi:[0,1]
	ds_read2_b64 v[24:27], v10 offset1:49
	v_mov_b32_e32 v62, v55
	v_pk_add_f32 v[62:63], v[40:41], v[62:63] neg_lo:[0,1] neg_hi:[0,1]
	v_pk_fma_f32 v[70:71], v[46:47], s[6:7], v[36:37]
	v_pk_mul_f32 v[62:63], v[62:63], s[16:17]
	s_waitcnt lgkmcnt(0)
	v_pk_add_f32 v[24:25], v[64:65], v[24:25]
	v_pk_fma_f32 v[68:69], v[66:67], s[14:15], v[62:63]
	v_pk_fma_f32 v[64:65], v[64:65], s[12:13], v[24:25] op_sel_hi:[1,0,1] neg_lo:[1,0,0] neg_hi:[1,0,0]
	v_pk_fma_f32 v[70:71], v[44:45], s[2:3], v[70:71] op_sel_hi:[1,0,1]
	v_pk_add_f32 v[68:69], v[68:69], v[64:65]
	v_mov_b32_e32 v32, v55
	v_pk_add_f32 v[72:73], v[68:69], v[70:71]
	v_pk_add_f32 v[68:69], v[68:69], v[70:71] neg_lo:[0,1] neg_hi:[0,1]
	v_mov_b32_e32 v70, v72
	v_mov_b32_e32 v71, v69
	;; [unrolled: 1-line block ×3, first 2 shown]
	s_waitcnt lgkmcnt(0)
	; wave barrier
	ds_write2_b64 v10, v[24:25], v[70:71] offset1:49
	v_pk_add_f32 v[24:25], v[28:29], v[60:61] neg_lo:[0,1] neg_hi:[0,1]
	v_pk_add_f32 v[12:13], v[32:33], v[40:41] neg_lo:[0,1] neg_hi:[0,1]
	v_pk_mul_f32 v[28:29], v[46:47], s[6:7]
	v_pk_mul_f32 v[32:33], v[66:67], s[14:15]
	v_mov_b32_e32 v41, v63
	v_mov_b32_e32 v40, v32
	v_mov_b32_e32 v46, v28
	v_mov_b32_e32 v47, v37
	v_mov_b32_e32 v63, v33
	v_mov_b32_e32 v37, v29
	v_pk_fma_f32 v[40:41], v[12:13], s[10:11], v[40:41] op_sel_hi:[1,0,1] neg_lo:[1,0,1] neg_hi:[1,0,1]
	v_pk_fma_f32 v[46:47], v[24:25], s[8:9], v[46:47] op_sel_hi:[1,0,1] neg_lo:[1,0,1] neg_hi:[1,0,1]
	;; [unrolled: 1-line block ×4, first 2 shown]
	v_pk_add_f32 v[40:41], v[40:41], v[64:65]
	v_pk_fma_f32 v[46:47], v[44:45], s[2:3], v[46:47] op_sel_hi:[1,0,1]
	v_pk_add_f32 v[12:13], v[12:13], v[64:65]
	v_pk_fma_f32 v[24:25], v[44:45], s[2:3], v[24:25] op_sel_hi:[1,0,1]
	v_pk_add_f32 v[54:55], v[40:41], v[46:47]
	v_pk_add_f32 v[40:41], v[40:41], v[46:47] neg_lo:[0,1] neg_hi:[0,1]
	v_pk_add_f32 v[28:29], v[12:13], v[24:25] neg_lo:[0,1] neg_hi:[0,1]
	v_pk_add_f32 v[12:13], v[12:13], v[24:25]
	v_mov_b32_e32 v24, v54
	v_mov_b32_e32 v25, v41
	;; [unrolled: 1-line block ×6, first 2 shown]
	ds_write2_b64 v10, v[24:25], v[32:33] offset0:98 offset1:147
	ds_write2_b64 v10, v[12:13], v[40:41] offset0:196 offset1:245
	v_mov_b32_e32 v12, v31
	v_pk_mul_f32 v[24:25], v[30:31], v[16:17] op_sel_hi:[0,1]
	v_pk_fma_f32 v[12:13], v[12:13], v[16:17], v[24:25] op_sel:[0,0,1] op_sel_hi:[1,1,0] neg_lo:[0,0,1] neg_hi:[0,0,1]
	v_pk_fma_f32 v[16:17], v[30:31], v[16:17], v[24:25] op_sel:[1,0,1] op_sel_hi:[1,1,0]
	v_pk_mul_f32 v[24:25], v[34:35], v[18:19] op_sel_hi:[0,1]
	v_mov_b32_e32 v16, v35
	v_mov_b32_e32 v13, v17
	v_pk_fma_f32 v[16:17], v[16:17], v[18:19], v[24:25] op_sel:[0,0,1] op_sel_hi:[1,1,0] neg_lo:[0,0,1] neg_hi:[0,0,1]
	v_pk_fma_f32 v[18:19], v[34:35], v[18:19], v[24:25] op_sel:[1,0,1] op_sel_hi:[1,1,0]
	v_pk_mul_f32 v[24:25], v[42:43], v[20:21] op_sel_hi:[0,1]
	v_mov_b32_e32 v18, v43
	v_mov_b32_e32 v17, v19
	;; [unrolled: 5-line block ×3, first 2 shown]
	v_pk_fma_f32 v[20:21], v[20:21], v[22:23], v[24:25] op_sel:[0,0,1] op_sel_hi:[1,1,0] neg_lo:[0,0,1] neg_hi:[0,0,1]
	v_pk_fma_f32 v[14:15], v[14:15], v[22:23], v[24:25] op_sel:[1,0,1] op_sel_hi:[1,1,0]
	v_mov_b32_e32 v57, v12
	v_mov_b32_e32 v21, v15
	;; [unrolled: 1-line block ×5, first 2 shown]
	v_pk_add_f32 v[14:15], v[12:13], v[20:21]
	v_pk_add_f32 v[22:23], v[12:13], v[20:21] neg_lo:[0,1] neg_hi:[0,1]
	v_pk_add_f32 v[24:25], v[16:17], v[18:19]
	v_pk_add_f32 v[28:29], v[16:17], v[18:19] neg_lo:[0,1] neg_hi:[0,1]
	v_pk_add_f32 v[12:13], v[56:57], v[38:39]
	v_pk_add_f32 v[16:17], v[48:49], v[50:51]
	v_mov_b32_e32 v59, v12
	v_mov_b32_e32 v53, v16
	v_pk_add_f32 v[18:19], v[58:59], v[52:53] neg_lo:[0,1] neg_hi:[0,1]
	v_mov_b32_e32 v34, v25
	v_mov_b32_e32 v35, v52
	;; [unrolled: 1-line block ×8, first 2 shown]
	v_pk_add_f32 v[34:35], v[34:35], v[36:37]
	v_pk_add_f32 v[36:37], v[16:17], v[12:13]
	v_pk_add_f32 v[20:21], v[20:21], v[30:31] neg_lo:[0,1] neg_hi:[0,1]
	v_mov_b32_e32 v30, v22
	v_mov_b32_e32 v32, v18
	;; [unrolled: 1-line block ×9, first 2 shown]
	v_pk_add_f32 v[30:31], v[30:31], v[32:33] neg_lo:[0,1] neg_hi:[0,1]
	v_pk_add_f32 v[38:39], v[12:13], v[38:39] neg_lo:[0,1] neg_hi:[0,1]
	;; [unrolled: 1-line block ×3, first 2 shown]
	v_pk_mul_f32 v[20:21], v[20:21], s[18:19]
	v_pk_mul_f32 v[32:33], v[30:31], s[6:7]
	v_pk_add_f32 v[18:19], v[18:19], v[28:29]
	v_pk_add_f32 v[34:35], v[34:35], v[36:37]
	v_pk_mul_f32 v[36:37], v[38:39], s[16:17]
	v_pk_mul_f32 v[38:39], v[40:41], s[14:15]
	v_mov_b32_e32 v16, v25
	v_mov_b32_e32 v12, v15
	v_pk_add_f32 v[18:19], v[18:19], v[22:23]
	v_pk_add_f32 v[26:27], v[34:35], v[26:27]
	v_pk_add_f32 v[22:23], v[28:29], v[22:23] neg_lo:[0,1] neg_hi:[0,1]
	v_pk_add_f32 v[12:13], v[16:17], v[12:13] neg_lo:[0,1] neg_hi:[0,1]
	v_mov_b32_e32 v14, v38
	v_mov_b32_e32 v15, v37
	;; [unrolled: 1-line block ×4, first 2 shown]
	v_pk_fma_f32 v[34:35], v[34:35], s[12:13], v[26:27] op_sel_hi:[1,0,1] neg_lo:[1,0,0] neg_hi:[1,0,0]
	v_pk_fma_f32 v[40:41], v[40:41], s[14:15], v[36:37]
	v_pk_fma_f32 v[30:31], v[30:31], s[6:7], v[20:21]
	v_pk_fma_f32 v[14:15], v[12:13], s[10:11], v[14:15] op_sel_hi:[1,0,1] neg_lo:[1,0,1] neg_hi:[1,0,1]
	v_pk_fma_f32 v[16:17], v[22:23], s[8:9], v[16:17] op_sel_hi:[1,0,1] neg_lo:[1,0,1] neg_hi:[1,0,1]
	v_pk_add_f32 v[40:41], v[40:41], v[34:35]
	v_pk_fma_f32 v[30:31], v[18:19], s[2:3], v[30:31] op_sel_hi:[1,0,1]
	v_pk_add_f32 v[14:15], v[14:15], v[34:35]
	v_pk_fma_f32 v[16:17], v[18:19], s[2:3], v[16:17] op_sel_hi:[1,0,1]
	v_mov_b32_e32 v69, v73
	v_pk_add_f32 v[42:43], v[40:41], v[30:31]
	v_pk_add_f32 v[30:31], v[40:41], v[30:31] neg_lo:[0,1] neg_hi:[0,1]
	v_pk_add_f32 v[24:25], v[14:15], v[16:17]
	v_pk_add_f32 v[14:15], v[14:15], v[16:17] neg_lo:[0,1] neg_hi:[0,1]
	ds_write2_b64 v8, v[68:69], v[26:27] offset0:38 offset1:87
	v_mov_b32_e32 v26, v42
	v_mov_b32_e32 v27, v31
	;; [unrolled: 1-line block ×6, first 2 shown]
	ds_write2_b64 v8, v[26:27], v[16:17] offset0:136 offset1:185
	v_pk_fma_f32 v[12:13], v[12:13], s[10:11], v[36:37] op_sel_hi:[1,0,1] neg_lo:[0,0,1] neg_hi:[0,0,1]
	v_pk_fma_f32 v[16:17], v[22:23], s[8:9], v[20:21] op_sel_hi:[1,0,1] neg_lo:[0,0,1] neg_hi:[0,0,1]
	v_pk_add_f32 v[12:13], v[12:13], v[34:35]
	v_pk_fma_f32 v[16:17], v[18:19], s[2:3], v[16:17] op_sel_hi:[1,0,1]
	v_mov_b32_e32 v15, v25
	v_pk_add_f32 v[18:19], v[12:13], v[16:17] neg_lo:[0,1] neg_hi:[0,1]
	v_pk_add_f32 v[12:13], v[12:13], v[16:17]
	v_mov_b32_e32 v16, v18
	v_mov_b32_e32 v17, v13
	;; [unrolled: 1-line block ×4, first 2 shown]
	ds_write2_b64 v9, v[16:17], v[12:13] offset0:106 offset1:155
	ds_write2_b64 v11, v[14:15], v[30:31] offset0:76 offset1:125
	s_waitcnt lgkmcnt(0)
	; wave barrier
	s_waitcnt lgkmcnt(0)
	global_load_dwordx2 v[20:21], v[4:5], off offset:2688
	v_lshl_add_u64 v[4:5], s[4:5], 0, v[6:7]
	global_load_dwordx2 v[22:23], v[4:5], off offset:3080
	global_load_dwordx2 v[24:25], v[4:5], off offset:3472
	;; [unrolled: 1-line block ×3, first 2 shown]
	s_movk_i32 s2, 0x1000
	v_add_co_u32_e32 v4, vcc, s2, v4
	s_nop 1
	v_addc_co_u32_e32 v5, vcc, 0, v5, vcc
	global_load_dwordx2 v[28:29], v[4:5], off offset:160
	global_load_dwordx2 v[30:31], v[4:5], off offset:552
	;; [unrolled: 1-line block ×3, first 2 shown]
	ds_read2_b64 v[4:7], v8 offset0:38 offset1:87
	ds_read2_b64 v[12:15], v8 offset0:136 offset1:185
	ds_read_b64 v[34:35], v10 offset:3920
	ds_read2_b32 v[36:37], v11 offset0:54 offset1:55
	ds_read2_b64 v[16:19], v10 offset1:49
	s_waitcnt vmcnt(6) lgkmcnt(4)
	v_pk_mul_f32 v[38:39], v[20:21], v[6:7] op_sel:[0,1]
	s_nop 0
	v_pk_fma_f32 v[40:41], v[20:21], v[6:7], v[38:39] op_sel:[0,0,1] op_sel_hi:[1,1,0]
	v_pk_fma_f32 v[6:7], v[20:21], v[6:7], v[38:39] op_sel:[0,0,1] op_sel_hi:[1,0,0] neg_lo:[1,0,0] neg_hi:[1,0,0]
	s_nop 0
	v_mov_b32_e32 v41, v7
	s_waitcnt lgkmcnt(0)
	v_pk_add_f32 v[6:7], v[16:17], v[40:41] neg_lo:[0,1] neg_hi:[0,1]
	s_nop 0
	v_pk_fma_f32 v[20:21], v[16:17], 2.0, v[6:7] op_sel_hi:[1,0,1] neg_lo:[0,0,1] neg_hi:[0,0,1]
	s_waitcnt vmcnt(5)
	v_pk_mul_f32 v[16:17], v[22:23], v[12:13] op_sel:[0,1]
	s_nop 0
	v_pk_fma_f32 v[38:39], v[22:23], v[12:13], v[16:17] op_sel:[0,0,1] op_sel_hi:[1,1,0]
	v_pk_fma_f32 v[12:13], v[22:23], v[12:13], v[16:17] op_sel:[0,0,1] op_sel_hi:[1,0,0] neg_lo:[1,0,0] neg_hi:[1,0,0]
	s_nop 0
	v_mov_b32_e32 v39, v13
	v_pk_add_f32 v[22:23], v[18:19], v[38:39] neg_lo:[0,1] neg_hi:[0,1]
	s_waitcnt vmcnt(4)
	v_pk_mul_f32 v[12:13], v[24:25], v[14:15] op_sel:[0,1]
	v_pk_fma_f32 v[38:39], v[18:19], 2.0, v[22:23] op_sel_hi:[1,0,1] neg_lo:[0,0,1] neg_hi:[0,0,1]
	ds_read2_b64 v[16:19], v10 offset0:98 offset1:147
	v_pk_fma_f32 v[40:41], v[24:25], v[14:15], v[12:13] op_sel:[0,0,1] op_sel_hi:[1,1,0]
	v_pk_fma_f32 v[12:13], v[24:25], v[14:15], v[12:13] op_sel:[0,0,1] op_sel_hi:[1,0,0] neg_lo:[1,0,0] neg_hi:[1,0,0]
	s_nop 0
	v_mov_b32_e32 v41, v13
	s_waitcnt vmcnt(3)
	v_pk_mul_f32 v[12:13], v[26:27], v[34:35] op_sel:[0,1]
	s_waitcnt lgkmcnt(0)
	v_pk_add_f32 v[24:25], v[16:17], v[40:41] neg_lo:[0,1] neg_hi:[0,1]
	v_pk_fma_f32 v[14:15], v[26:27], v[34:35], v[12:13] op_sel:[0,0,1] op_sel_hi:[1,1,0]
	v_pk_fma_f32 v[12:13], v[26:27], v[34:35], v[12:13] op_sel:[0,0,1] op_sel_hi:[1,0,0] neg_lo:[1,0,0] neg_hi:[1,0,0]
	v_pk_fma_f32 v[40:41], v[16:17], 2.0, v[24:25] op_sel_hi:[1,0,1] neg_lo:[0,0,1] neg_hi:[0,0,1]
	v_mov_b32_e32 v15, v13
	v_pk_add_f32 v[26:27], v[18:19], v[14:15] neg_lo:[0,1] neg_hi:[0,1]
	v_mov_b32_e32 v16, v37
	v_pk_fma_f32 v[34:35], v[18:19], 2.0, v[26:27] op_sel_hi:[1,0,1] neg_lo:[0,0,1] neg_hi:[0,0,1]
	s_waitcnt vmcnt(2)
	v_pk_mul_f32 v[42:43], v[16:17], v[28:29] op_sel_hi:[0,1]
	ds_read2_b64 v[16:19], v11 offset0:76 offset1:125
	ds_read2_b64 v[12:15], v10 offset0:196 offset1:245
	v_pk_fma_f32 v[44:45], v[28:29], v[36:37], v[42:43] op_sel:[0,0,1] op_sel_hi:[1,1,0]
	v_pk_fma_f32 v[28:29], v[28:29], v[36:37], v[42:43] op_sel:[0,0,1] op_sel_hi:[1,0,0] neg_lo:[1,0,0] neg_hi:[1,0,0]
	s_waitcnt vmcnt(1) lgkmcnt(0)
	v_pk_mul_f32 v[36:37], v[16:17], v[30:31] op_sel:[0,1]
	v_mov_b32_e32 v45, v29
	v_pk_fma_f32 v[42:43], v[16:17], v[30:31], v[36:37] op_sel:[0,0,1] op_sel_hi:[1,1,0]
	v_pk_fma_f32 v[16:17], v[16:17], v[30:31], v[36:37] op_sel:[0,0,1] op_sel_hi:[1,0,0] neg_lo:[0,0,1] neg_hi:[0,0,1]
	s_waitcnt vmcnt(0)
	v_pk_mul_f32 v[30:31], v[18:19], v[32:33] op_sel:[0,1]
	v_mov_b32_e32 v43, v17
	v_pk_fma_f32 v[36:37], v[18:19], v[32:33], v[30:31] op_sel:[0,0,1] op_sel_hi:[1,1,0]
	v_pk_fma_f32 v[18:19], v[18:19], v[32:33], v[30:31] op_sel:[0,0,1] op_sel_hi:[1,0,0] neg_lo:[0,0,1] neg_hi:[0,0,1]
	v_pk_add_f32 v[28:29], v[12:13], v[44:45] neg_lo:[0,1] neg_hi:[0,1]
	v_mov_b32_e32 v37, v19
	v_pk_add_f32 v[16:17], v[14:15], v[42:43] neg_lo:[0,1] neg_hi:[0,1]
	v_pk_add_f32 v[18:19], v[4:5], v[36:37] neg_lo:[0,1] neg_hi:[0,1]
	v_pk_fma_f32 v[12:13], v[12:13], 2.0, v[28:29] op_sel_hi:[1,0,1] neg_lo:[0,0,1] neg_hi:[0,0,1]
	v_pk_fma_f32 v[14:15], v[14:15], 2.0, v[16:17] op_sel_hi:[1,0,1] neg_lo:[0,0,1] neg_hi:[0,0,1]
	;; [unrolled: 1-line block ×3, first 2 shown]
	; wave barrier
	ds_write2_b64 v10, v[20:21], v[38:39] offset1:49
	ds_write2_b64 v8, v[22:23], v[24:25] offset0:136 offset1:185
	ds_write2_b64 v10, v[40:41], v[34:35] offset0:98 offset1:147
	;; [unrolled: 1-line block ×6, first 2 shown]
	s_waitcnt lgkmcnt(0)
	; wave barrier
	s_waitcnt lgkmcnt(0)
	s_and_saveexec_b64 s[2:3], s[0:1]
	s_cbranch_execz .LBB0_19
; %bb.18:
	v_lshl_add_u32 v14, v2, 3, 0
	ds_read2_b64 v[4:7], v14 offset1:49
	v_lshl_add_u64 v[8:9], v[2:3], 3, v[0:1]
	v_add_u32_e32 v10, 49, v2
	v_mov_b32_e32 v11, v3
	v_lshl_add_u64 v[12:13], v[10:11], 3, v[0:1]
	s_waitcnt lgkmcnt(0)
	global_store_dwordx2 v[8:9], v[4:5], off
	ds_read2_b64 v[8:11], v14 offset0:98 offset1:147
	v_add_u32_e32 v4, 0x62, v2
	v_mov_b32_e32 v5, v3
	v_lshl_add_u64 v[4:5], v[4:5], 3, v[0:1]
	global_store_dwordx2 v[12:13], v[6:7], off
	s_waitcnt lgkmcnt(0)
	global_store_dwordx2 v[4:5], v[8:9], off
	v_add_u32_e32 v4, 0x93, v2
	v_mov_b32_e32 v5, v3
	v_lshl_add_u64 v[8:9], v[4:5], 3, v[0:1]
	ds_read2_b64 v[4:7], v14 offset0:196 offset1:245
	global_store_dwordx2 v[8:9], v[10:11], off
	v_add_u32_e32 v8, 0xc4, v2
	v_mov_b32_e32 v9, v3
	v_lshl_add_u64 v[8:9], v[8:9], 3, v[0:1]
	v_add_u32_e32 v12, 0x800, v14
	s_waitcnt lgkmcnt(0)
	global_store_dwordx2 v[8:9], v[4:5], off
	ds_read2_b64 v[8:11], v12 offset0:38 offset1:87
	v_add_u32_e32 v4, 0xf5, v2
	v_mov_b32_e32 v5, v3
	v_lshl_add_u64 v[4:5], v[4:5], 3, v[0:1]
	global_store_dwordx2 v[4:5], v[6:7], off
	v_add_u32_e32 v4, 0x126, v2
	v_mov_b32_e32 v5, v3
	v_lshl_add_u64 v[4:5], v[4:5], 3, v[0:1]
	s_waitcnt lgkmcnt(0)
	global_store_dwordx2 v[4:5], v[8:9], off
	v_add_u32_e32 v4, 0x157, v2
	v_mov_b32_e32 v5, v3
	v_lshl_add_u64 v[8:9], v[4:5], 3, v[0:1]
	ds_read2_b64 v[4:7], v12 offset0:136 offset1:185
	global_store_dwordx2 v[8:9], v[10:11], off
	v_add_u32_e32 v8, 0x188, v2
	v_mov_b32_e32 v9, v3
	v_lshl_add_u64 v[8:9], v[8:9], 3, v[0:1]
	s_waitcnt lgkmcnt(0)
	global_store_dwordx2 v[8:9], v[4:5], off
	v_add_u32_e32 v8, 0xc00, v14
	ds_read2_b64 v[8:11], v8 offset0:106 offset1:155
	v_add_u32_e32 v4, 0x1b9, v2
	v_mov_b32_e32 v5, v3
	v_lshl_add_u64 v[4:5], v[4:5], 3, v[0:1]
	global_store_dwordx2 v[4:5], v[6:7], off
	v_add_u32_e32 v4, 0x1ea, v2
	v_mov_b32_e32 v5, v3
	v_lshl_add_u64 v[4:5], v[4:5], 3, v[0:1]
	s_waitcnt lgkmcnt(0)
	global_store_dwordx2 v[4:5], v[8:9], off
	v_add_u32_e32 v4, 0x21b, v2
	v_mov_b32_e32 v5, v3
	v_lshl_add_u64 v[8:9], v[4:5], 3, v[0:1]
	v_add_u32_e32 v4, 0x1000, v14
	ds_read2_b64 v[4:7], v4 offset0:76 offset1:125
	global_store_dwordx2 v[8:9], v[10:11], off
	v_add_u32_e32 v8, 0x24c, v2
	v_mov_b32_e32 v9, v3
	v_add_u32_e32 v2, 0x27d, v2
	v_lshl_add_u64 v[8:9], v[8:9], 3, v[0:1]
	v_lshl_add_u64 v[0:1], v[2:3], 3, v[0:1]
	s_waitcnt lgkmcnt(0)
	global_store_dwordx2 v[8:9], v[4:5], off
	global_store_dwordx2 v[0:1], v[6:7], off
.LBB0_19:
	s_endpgm
	.section	.rodata,"a",@progbits
	.p2align	6, 0x0
	.amdhsa_kernel fft_rtc_back_len686_factors_7_7_7_2_wgs_49_tpt_49_sp_ip_CI_unitstride_sbrr_C2R_dirReg
		.amdhsa_group_segment_fixed_size 0
		.amdhsa_private_segment_fixed_size 0
		.amdhsa_kernarg_size 88
		.amdhsa_user_sgpr_count 2
		.amdhsa_user_sgpr_dispatch_ptr 0
		.amdhsa_user_sgpr_queue_ptr 0
		.amdhsa_user_sgpr_kernarg_segment_ptr 1
		.amdhsa_user_sgpr_dispatch_id 0
		.amdhsa_user_sgpr_kernarg_preload_length 0
		.amdhsa_user_sgpr_kernarg_preload_offset 0
		.amdhsa_user_sgpr_private_segment_size 0
		.amdhsa_uses_dynamic_stack 0
		.amdhsa_enable_private_segment 0
		.amdhsa_system_sgpr_workgroup_id_x 1
		.amdhsa_system_sgpr_workgroup_id_y 0
		.amdhsa_system_sgpr_workgroup_id_z 0
		.amdhsa_system_sgpr_workgroup_info 0
		.amdhsa_system_vgpr_workitem_id 0
		.amdhsa_next_free_vgpr 78
		.amdhsa_next_free_sgpr 22
		.amdhsa_accum_offset 80
		.amdhsa_reserve_vcc 1
		.amdhsa_float_round_mode_32 0
		.amdhsa_float_round_mode_16_64 0
		.amdhsa_float_denorm_mode_32 3
		.amdhsa_float_denorm_mode_16_64 3
		.amdhsa_dx10_clamp 1
		.amdhsa_ieee_mode 1
		.amdhsa_fp16_overflow 0
		.amdhsa_tg_split 0
		.amdhsa_exception_fp_ieee_invalid_op 0
		.amdhsa_exception_fp_denorm_src 0
		.amdhsa_exception_fp_ieee_div_zero 0
		.amdhsa_exception_fp_ieee_overflow 0
		.amdhsa_exception_fp_ieee_underflow 0
		.amdhsa_exception_fp_ieee_inexact 0
		.amdhsa_exception_int_div_zero 0
	.end_amdhsa_kernel
	.text
.Lfunc_end0:
	.size	fft_rtc_back_len686_factors_7_7_7_2_wgs_49_tpt_49_sp_ip_CI_unitstride_sbrr_C2R_dirReg, .Lfunc_end0-fft_rtc_back_len686_factors_7_7_7_2_wgs_49_tpt_49_sp_ip_CI_unitstride_sbrr_C2R_dirReg
                                        ; -- End function
	.section	.AMDGPU.csdata,"",@progbits
; Kernel info:
; codeLenInByte = 8312
; NumSgprs: 28
; NumVgprs: 78
; NumAgprs: 0
; TotalNumVgprs: 78
; ScratchSize: 0
; MemoryBound: 0
; FloatMode: 240
; IeeeMode: 1
; LDSByteSize: 0 bytes/workgroup (compile time only)
; SGPRBlocks: 3
; VGPRBlocks: 9
; NumSGPRsForWavesPerEU: 28
; NumVGPRsForWavesPerEU: 78
; AccumOffset: 80
; Occupancy: 6
; WaveLimiterHint : 1
; COMPUTE_PGM_RSRC2:SCRATCH_EN: 0
; COMPUTE_PGM_RSRC2:USER_SGPR: 2
; COMPUTE_PGM_RSRC2:TRAP_HANDLER: 0
; COMPUTE_PGM_RSRC2:TGID_X_EN: 1
; COMPUTE_PGM_RSRC2:TGID_Y_EN: 0
; COMPUTE_PGM_RSRC2:TGID_Z_EN: 0
; COMPUTE_PGM_RSRC2:TIDIG_COMP_CNT: 0
; COMPUTE_PGM_RSRC3_GFX90A:ACCUM_OFFSET: 19
; COMPUTE_PGM_RSRC3_GFX90A:TG_SPLIT: 0
	.text
	.p2alignl 6, 3212836864
	.fill 256, 4, 3212836864
	.type	__hip_cuid_1774323f7b2d635b,@object ; @__hip_cuid_1774323f7b2d635b
	.section	.bss,"aw",@nobits
	.globl	__hip_cuid_1774323f7b2d635b
__hip_cuid_1774323f7b2d635b:
	.byte	0                               ; 0x0
	.size	__hip_cuid_1774323f7b2d635b, 1

	.ident	"AMD clang version 19.0.0git (https://github.com/RadeonOpenCompute/llvm-project roc-6.4.0 25133 c7fe45cf4b819c5991fe208aaa96edf142730f1d)"
	.section	".note.GNU-stack","",@progbits
	.addrsig
	.addrsig_sym __hip_cuid_1774323f7b2d635b
	.amdgpu_metadata
---
amdhsa.kernels:
  - .agpr_count:     0
    .args:
      - .actual_access:  read_only
        .address_space:  global
        .offset:         0
        .size:           8
        .value_kind:     global_buffer
      - .offset:         8
        .size:           8
        .value_kind:     by_value
      - .actual_access:  read_only
        .address_space:  global
        .offset:         16
        .size:           8
        .value_kind:     global_buffer
      - .actual_access:  read_only
        .address_space:  global
        .offset:         24
        .size:           8
        .value_kind:     global_buffer
      - .offset:         32
        .size:           8
        .value_kind:     by_value
      - .actual_access:  read_only
        .address_space:  global
        .offset:         40
        .size:           8
        .value_kind:     global_buffer
      - .actual_access:  read_only
        .address_space:  global
        .offset:         48
        .size:           8
        .value_kind:     global_buffer
      - .offset:         56
        .size:           4
        .value_kind:     by_value
      - .actual_access:  read_only
        .address_space:  global
        .offset:         64
        .size:           8
        .value_kind:     global_buffer
      - .actual_access:  read_only
        .address_space:  global
        .offset:         72
        .size:           8
        .value_kind:     global_buffer
      - .address_space:  global
        .offset:         80
        .size:           8
        .value_kind:     global_buffer
    .group_segment_fixed_size: 0
    .kernarg_segment_align: 8
    .kernarg_segment_size: 88
    .language:       OpenCL C
    .language_version:
      - 2
      - 0
    .max_flat_workgroup_size: 49
    .name:           fft_rtc_back_len686_factors_7_7_7_2_wgs_49_tpt_49_sp_ip_CI_unitstride_sbrr_C2R_dirReg
    .private_segment_fixed_size: 0
    .sgpr_count:     28
    .sgpr_spill_count: 0
    .symbol:         fft_rtc_back_len686_factors_7_7_7_2_wgs_49_tpt_49_sp_ip_CI_unitstride_sbrr_C2R_dirReg.kd
    .uniform_work_group_size: 1
    .uses_dynamic_stack: false
    .vgpr_count:     78
    .vgpr_spill_count: 0
    .wavefront_size: 64
amdhsa.target:   amdgcn-amd-amdhsa--gfx950
amdhsa.version:
  - 1
  - 2
...

	.end_amdgpu_metadata
